;; amdgpu-corpus repo=zjin-lcf/HeCBench kind=compiled arch=gfx1030 opt=O3
	.amdgcn_target "amdgcn-amd-amdhsa--gfx1030"
	.amdhsa_code_object_version 6
	.text
	.protected	_Z18hessian_matrix_detPKfiifPf ; -- Begin function _Z18hessian_matrix_detPKfiifPf
	.globl	_Z18hessian_matrix_detPKfiifPf
	.p2align	8
	.type	_Z18hessian_matrix_detPKfiifPf,@function
_Z18hessian_matrix_detPKfiifPf:         ; @_Z18hessian_matrix_detPKfiifPf
; %bb.0:
	s_clause 0x1
	s_load_dword s7, s[4:5], 0x2c
	s_load_dwordx4 s[0:3], s[4:5], 0x8
	s_waitcnt lgkmcnt(0)
	s_and_b32 s3, s7, 0xffff
	v_mad_u64_u32 v[0:1], null, s6, s3, v[0:1]
	s_mul_i32 s3, s1, s0
	v_cmp_gt_i32_e32 vcc_lo, s3, v0
	s_and_saveexec_b32 s3, vcc_lo
	s_cbranch_execz .LBB0_2
; %bb.1:
	s_abs_i32 s3, s1
	v_sub_nc_u32_e32 v3, 0, v0
	v_cvt_f32_u32_e32 v1, s3
	s_sub_i32 s6, 0, s3
	v_mul_f32_e64 v5, 0x40400000, s2
	v_max_i32_e32 v3, v0, v3
	v_rcp_iflag_f32_e32 v1, v1
	v_mul_f32_e32 v1, 0x4f7ffffe, v1
	v_cvt_u32_f32_e32 v1, v1
	v_mul_lo_u32 v2, s6, v1
	v_mul_hi_u32 v2, v1, v2
	v_add_nc_u32_e32 v1, v1, v2
	v_mul_hi_u32 v1, v3, v1
	v_mul_lo_u32 v2, v1, s3
	v_sub_nc_u32_e32 v2, v3, v2
	v_add_nc_u32_e32 v3, 1, v1
	v_subrev_nc_u32_e32 v4, s3, v2
	v_cmp_le_u32_e32 vcc_lo, s3, v2
	v_cndmask_b32_e32 v3, v1, v3, vcc_lo
	v_cndmask_b32_e32 v2, v2, v4, vcc_lo
	v_xor_b32_e32 v1, s1, v0
	v_add_nc_u32_e32 v4, 1, v3
	v_cmp_le_u32_e32 vcc_lo, s3, v2
	v_ashrrev_i32_e32 v6, 31, v1
	v_cvt_i32_f32_e32 v1, v5
	s_clause 0x1
	s_load_dwordx2 s[6:7], s[4:5], 0x0
	s_load_dwordx2 s[2:3], s[4:5], 0x18
	s_add_i32 s4, s0, -1
	v_cndmask_b32_e32 v2, v3, v4, vcc_lo
	v_readfirstlane_b32 s8, v1
	v_xor_b32_e32 v2, v2, v6
	s_mul_hi_i32 s9, s8, 0x55555556
	s_add_i32 s5, s8, -1
	s_lshr_b32 s8, s9, 31
	v_sub_nc_u32_e32 v2, v2, v6
	s_add_i32 s9, s9, s8
	s_add_i32 s8, s1, -1
	s_lshr_b32 s10, s5, 31
	v_subrev_nc_u32_e32 v15, s9, v2
	v_mul_lo_u32 v3, v2, s1
	v_add_nc_u32_e32 v4, 1, v2
	s_add_i32 s5, s5, s10
	s_lshl_b32 s10, s9, 1
	v_max_i32_e32 v5, 0, v15
	v_cmp_gt_i32_e32 vcc_lo, s0, v15
	v_max_i32_e32 v6, 0, v4
	s_ashr_i32 s5, s5, 1
	v_sub_nc_u32_e32 v13, v0, v3
	s_add_i32 s5, s5, 1
	v_cndmask_b32_e32 v7, s4, v5, vcc_lo
	v_cmp_gt_i32_e32 vcc_lo, s0, v4
	v_subrev_nc_u32_e32 v5, s9, v13
	v_add_nc_u32_e32 v8, s9, v7
	v_cndmask_b32_e32 v4, s4, v6, vcc_lo
	v_add_nc_u32_e32 v6, 1, v13
	v_cmp_gt_i32_e32 vcc_lo, s1, v5
	v_mul_lo_u32 v3, v7, s1
	v_max_i32_e32 v11, 0, v8
	v_add_nc_u32_e32 v9, s9, v4
	v_mul_lo_u32 v39, v4, s1
	v_max_i32_e32 v4, 0, v5
	v_max_i32_e32 v10, 0, v6
	v_add_nc_u32_e32 v7, v7, v1
	v_max_i32_e32 v12, 0, v9
	v_cndmask_b32_e32 v14, s8, v4, vcc_lo
	v_cmp_gt_i32_e32 vcc_lo, s1, v6
	v_add_nc_u32_e32 v4, v3, v14
	v_cndmask_b32_e32 v6, s8, v10, vcc_lo
	v_cmp_gt_i32_e32 vcc_lo, s0, v8
	v_add_nc_u32_e32 v16, v39, v14
	v_add_nc_u32_e32 v18, s9, v6
	v_cndmask_b32_e32 v5, s4, v11, vcc_lo
	v_cmp_gt_i32_e32 vcc_lo, s0, v9
	v_add_nc_u32_e32 v8, v39, v6
	v_add_nc_u32_e32 v10, v3, v6
	v_max_i32_e32 v19, 0, v18
	v_mul_lo_u32 v22, v5, s1
	v_cndmask_b32_e32 v9, s4, v12, vcc_lo
	v_add_nc_u32_e32 v12, s9, v14
	v_ashrrev_i32_e32 v5, 31, v4
	v_ashrrev_i32_e32 v11, 31, v10
	v_mul_lo_u32 v40, v9, s1
	v_max_i32_e32 v17, 0, v12
	v_cmp_gt_i32_e32 vcc_lo, s1, v12
	v_ashrrev_i32_e32 v9, 31, v8
	v_lshlrev_b64 v[4:5], 2, v[4:5]
	v_lshlrev_b64 v[10:11], 2, v[10:11]
	v_add_nc_u32_e32 v21, v22, v6
	v_cndmask_b32_e32 v41, s8, v17, vcc_lo
	v_cmp_gt_i32_e32 vcc_lo, s1, v18
	v_add_nc_u32_e32 v17, v22, v14
	v_lshlrev_b64 v[8:9], 2, v[8:9]
	v_add_nc_u32_e32 v23, v22, v41
	v_cndmask_b32_e32 v12, s8, v19, vcc_lo
	v_add_nc_u32_e32 v19, v40, v6
	v_ashrrev_i32_e32 v18, 31, v17
	v_add_nc_u32_e32 v25, v41, v3
	s_waitcnt lgkmcnt(0)
	v_add_co_u32 v4, vcc_lo, s6, v4
	v_add_nc_u32_e32 v27, v40, v12
	v_add_nc_u32_e32 v31, v22, v12
	v_ashrrev_i32_e32 v20, 31, v19
	v_add_nc_u32_e32 v29, v12, v39
	v_add_nc_u32_e32 v33, v12, v3
	v_add_co_ci_u32_e64 v5, null, s7, v5, vcc_lo
	v_add_co_u32 v35, vcc_lo, s6, v8
	v_ashrrev_i32_e32 v24, 31, v23
	v_add_co_ci_u32_e64 v36, null, s7, v9, vcc_lo
	v_add_co_u32 v37, vcc_lo, s6, v10
	v_lshlrev_b64 v[8:9], 2, v[17:18]
	v_ashrrev_i32_e32 v26, 31, v25
	v_ashrrev_i32_e32 v28, 31, v27
	;; [unrolled: 1-line block ×3, first 2 shown]
	v_add_co_ci_u32_e64 v38, null, s7, v11, vcc_lo
	v_lshlrev_b64 v[10:11], 2, v[19:20]
	v_ashrrev_i32_e32 v30, 31, v29
	v_ashrrev_i32_e32 v34, 31, v33
	v_lshlrev_b64 v[17:18], 2, v[23:24]
	v_lshlrev_b64 v[19:20], 2, v[25:26]
	;; [unrolled: 1-line block ×4, first 2 shown]
	v_add_co_u32 v31, vcc_lo, s6, v8
	v_lshlrev_b64 v[25:26], 2, v[29:30]
	v_lshlrev_b64 v[29:30], 2, v[33:34]
	v_add_co_ci_u32_e64 v32, null, s7, v9, vcc_lo
	v_add_co_u32 v33, vcc_lo, s6, v10
	v_add_co_ci_u32_e64 v34, null, s7, v11, vcc_lo
	v_add_co_u32 v10, vcc_lo, s6, v17
	;; [unrolled: 2-line block ×4, first 2 shown]
	v_ashrrev_i32_e32 v22, 31, v21
	v_add_co_ci_u32_e64 v20, null, s7, v24, vcc_lo
	v_add_co_u32 v23, vcc_lo, s6, v25
	v_add_co_ci_u32_e64 v24, null, s7, v26, vcc_lo
	s_clause 0x7
	global_load_dword v9, v[4:5], off
	global_load_dword v10, v[10:11], off
	global_load_dword v6, v[17:18], off
	global_load_dword v4, v[31:32], off
	global_load_dword v11, v[35:36], off
	global_load_dword v12, v[19:20], off
	global_load_dword v8, v[23:24], off
	global_load_dword v5, v[33:34], off
	v_ashrrev_i32_e32 v17, 31, v16
	v_lshlrev_b64 v[18:19], 2, v[21:22]
	v_add_nc_u32_e32 v25, v40, v41
	v_add_co_u32 v23, vcc_lo, s6, v27
	v_lshlrev_b64 v[16:17], 2, v[16:17]
	v_add_co_ci_u32_e64 v24, null, s7, v28, vcc_lo
	v_add_co_u32 v21, vcc_lo, s6, v29
	v_ashrrev_i32_e32 v26, 31, v25
	v_add_co_ci_u32_e64 v22, null, s7, v30, vcc_lo
	v_add_nc_u32_e32 v27, v41, v39
	v_add_co_u32 v29, vcc_lo, s6, v18
	v_add_nc_u32_e32 v20, 1, v15
	v_add_co_ci_u32_e64 v30, null, s7, v19, vcc_lo
	v_add_nc_u32_e32 v19, v40, v14
	v_add_co_u32 v31, vcc_lo, s6, v16
	v_lshlrev_b64 v[15:16], 2, v[25:26]
	v_ashrrev_i32_e32 v28, 31, v27
	v_add_co_ci_u32_e64 v32, null, s7, v17, vcc_lo
	v_max_i32_e32 v33, 0, v20
	v_cmp_gt_i32_e32 vcc_lo, s0, v20
	v_ashrrev_i32_e32 v20, 31, v19
	v_lshlrev_b64 v[17:18], 2, v[27:28]
	v_cndmask_b32_e32 v33, s4, v33, vcc_lo
	v_add_co_u32 v25, vcc_lo, s6, v15
	v_add_co_ci_u32_e64 v26, null, s7, v16, vcc_lo
	v_lshlrev_b64 v[15:16], 2, v[19:20]
	v_add3_u32 v35, s10, -1, v33
	v_add_co_u32 v27, vcc_lo, s6, v17
	v_mul_hi_i32 v19, 0xd5555555, v1
	v_add_co_ci_u32_e64 v28, null, s7, v18, vcc_lo
	v_mul_lo_u32 v39, v33, s1
	v_add_co_u32 v33, vcc_lo, s6, v15
	v_max_i32_e32 v17, 0, v35
	v_add_co_ci_u32_e64 v34, null, s7, v16, vcc_lo
	v_cmp_gt_i32_e32 vcc_lo, s0, v35
	v_add_nc_u32_e32 v18, v14, v1
	v_add_nc_u32_e32 v35, v39, v14
	s_lshl_b32 s10, s5, 1
	v_mul_lo_u32 v1, v1, v1
	v_cndmask_b32_e32 v16, s4, v17, vcc_lo
	v_lshrrev_b32_e32 v17, 31, v19
	v_max_i32_e32 v15, 0, v18
	v_cmp_gt_i32_e32 vcc_lo, s1, v18
	v_ashrrev_i32_e32 v36, 31, v35
	v_mul_lo_u32 v41, v16, s1
	v_add3_u32 v42, v19, v17, v13
	v_cvt_f32_u32_e32 v1, v1
	v_cndmask_b32_e32 v40, s8, v15, vcc_lo
	s_clause 0x7
	global_load_dword v19, v[37:38], off
	global_load_dword v20, v[23:24], off
	;; [unrolled: 1-line block ×8, first 2 shown]
	v_lshlrev_b64 v[27:28], 2, v[35:36]
	v_max_i32_e32 v24, 0, v42
	v_cmp_gt_i32_e32 vcc_lo, s1, v42
	v_add_nc_u32_e32 v29, v41, v14
	v_add_nc_u32_e32 v23, v41, v40
	;; [unrolled: 1-line block ×3, first 2 shown]
	v_subrev_nc_u32_e32 v38, s5, v13
	v_cndmask_b32_e32 v37, s8, v24, vcc_lo
	v_add_co_u32 v27, vcc_lo, s6, v27
	v_add_co_ci_u32_e64 v28, null, s7, v28, vcc_lo
	v_add_nc_u32_e32 v14, s9, v37
	v_ashrrev_i32_e32 v24, 31, v23
	v_ashrrev_i32_e32 v26, 31, v25
	;; [unrolled: 1-line block ×3, first 2 shown]
	s_lshr_b32 s9, s5, 31
	v_max_i32_e32 v31, 0, v14
	v_cmp_gt_i32_e32 vcc_lo, s1, v14
	v_lshlrev_b64 v[23:24], 2, v[23:24]
	v_lshlrev_b64 v[25:26], 2, v[25:26]
	;; [unrolled: 1-line block ×3, first 2 shown]
	s_add_i32 s9, s5, s9
	v_cndmask_b32_e32 v14, s8, v31, vcc_lo
	v_add_nc_u32_e32 v31, v39, v37
	v_add_co_u32 v23, vcc_lo, s6, v23
	v_add_co_ci_u32_e64 v24, null, s7, v24, vcc_lo
	v_ashrrev_i32_e32 v32, 31, v31
	v_add_nc_u32_e32 v35, v14, v39
	v_add_nc_u32_e32 v33, v41, v14
	v_add_co_u32 v25, vcc_lo, s6, v25
	v_lshlrev_b64 v[31:32], 2, v[31:32]
	v_ashrrev_i32_e32 v36, 31, v35
	v_add_co_ci_u32_e64 v26, null, s7, v26, vcc_lo
	v_ashrrev_i32_e32 v34, 31, v33
	v_add_co_u32 v29, vcc_lo, s6, v29
	v_add_co_ci_u32_e64 v30, null, s7, v30, vcc_lo
	v_add_co_u32 v13, vcc_lo, s6, v31
	v_add_co_ci_u32_e64 v14, null, s7, v32, vcc_lo
	v_lshlrev_b64 v[31:32], 2, v[35:36]
	v_add_nc_u32_e32 v35, v41, v37
	v_lshlrev_b64 v[33:34], 2, v[33:34]
	v_add_nc_u32_e32 v37, 1, v38
	s_ashr_i32 s9, s9, 1
	v_ashrrev_i32_e32 v36, 31, v35
	v_subrev_nc_u32_e32 v2, s9, v2
	v_add_co_u32 v33, vcc_lo, s6, v33
	v_add_co_ci_u32_e64 v34, null, s7, v34, vcc_lo
	v_add_co_u32 v31, vcc_lo, s6, v31
	v_lshlrev_b64 v[35:36], 2, v[35:36]
	v_max_i32_e32 v38, 0, v37
	v_add_co_ci_u32_e64 v32, null, s7, v32, vcc_lo
	v_cmp_gt_i32_e32 vcc_lo, s1, v37
	v_max_i32_e32 v37, 0, v7
	v_max_i32_e32 v40, 0, v2
	v_cndmask_b32_e32 v39, s8, v38, vcc_lo
	v_add_co_u32 v35, vcc_lo, s6, v35
	v_add_co_ci_u32_e64 v36, null, s7, v36, vcc_lo
	v_cmp_gt_i32_e32 vcc_lo, s0, v7
	v_add3_u32 v38, s10, -1, v39
	s_clause 0x7
	global_load_dword v42, v[27:28], off
	global_load_dword v43, v[23:24], off
	;; [unrolled: 1-line block ×8, first 2 shown]
	v_cndmask_b32_e32 v7, s4, v37, vcc_lo
	v_cmp_gt_i32_e32 vcc_lo, s0, v2
	v_max_i32_e32 v41, 0, v38
	v_add_nc_u32_e32 v37, v39, v3
	v_mul_lo_u32 v7, v7, s1
	v_cndmask_b32_e32 v2, s4, v40, vcc_lo
	v_cmp_gt_i32_e32 vcc_lo, s1, v38
	v_ashrrev_i32_e32 v38, 31, v37
	v_mul_lo_u32 v31, v2, s1
	v_cndmask_b32_e32 v40, s8, v41, vcc_lo
	v_add_nc_u32_e32 v41, s5, v2
	v_lshlrev_b64 v[23:24], 2, v[37:38]
	v_add_nc_u32_e32 v27, v7, v39
	v_add_nc_u32_e32 v2, v40, v7
	v_max_i32_e32 v14, 0, v41
	v_cmp_gt_i32_e32 vcc_lo, s0, v41
	v_add_nc_u32_e32 v13, v40, v3
	v_add_nc_u32_e32 v25, v39, v31
	v_ashrrev_i32_e32 v3, 31, v2
	v_add_nc_u32_e32 v31, v40, v31
	v_cndmask_b32_e32 v26, s4, v14, vcc_lo
	v_ashrrev_i32_e32 v14, 31, v13
	v_add_co_u32 v23, vcc_lo, s6, v23
	v_lshlrev_b64 v[2:3], 2, v[2:3]
	v_mul_lo_u32 v33, v26, s1
	v_ashrrev_i32_e32 v26, 31, v25
	v_lshlrev_b64 v[13:14], 2, v[13:14]
	v_ashrrev_i32_e32 v32, 31, v31
	v_add_co_ci_u32_e64 v24, null, s7, v24, vcc_lo
	v_lshlrev_b64 v[25:26], 2, v[25:26]
	v_add_co_u32 v2, vcc_lo, s6, v2
	v_add_nc_u32_e32 v29, v40, v33
	v_add_nc_u32_e32 v33, v33, v39
	v_add_co_ci_u32_e64 v3, null, s7, v3, vcc_lo
	v_add_co_u32 v13, vcc_lo, s6, v13
	v_ashrrev_i32_e32 v30, 31, v29
	v_ashrrev_i32_e32 v28, 31, v27
	v_add_co_ci_u32_e64 v14, null, s7, v14, vcc_lo
	v_add_co_u32 v25, vcc_lo, s6, v25
	v_lshlrev_b64 v[29:30], 2, v[29:30]
	v_lshlrev_b64 v[31:32], 2, v[31:32]
	v_ashrrev_i32_e32 v34, 31, v33
	v_add_co_ci_u32_e64 v26, null, s7, v26, vcc_lo
	v_lshlrev_b64 v[27:28], 2, v[27:28]
	v_add_co_u32 v29, vcc_lo, s6, v29
	v_add_co_ci_u32_e64 v30, null, s7, v30, vcc_lo
	s_clause 0x3
	global_load_dword v7, v[23:24], off
	global_load_dword v36, v[2:3], off
	;; [unrolled: 1-line block ×4, first 2 shown]
	v_add_co_u32 v2, vcc_lo, s6, v31
	v_lshlrev_b64 v[23:24], 2, v[33:34]
	v_add_co_ci_u32_e64 v3, null, s7, v32, vcc_lo
	v_add_co_u32 v25, vcc_lo, s6, v27
	v_add_co_ci_u32_e64 v26, null, s7, v28, vcc_lo
	s_clause 0x1
	global_load_dword v13, v[13:14], off
	global_load_dword v14, v[2:3], off
	v_add_co_u32 v2, vcc_lo, s6, v23
	v_add_co_ci_u32_e64 v3, null, s7, v24, vcc_lo
	s_clause 0x1
	global_load_dword v23, v[25:26], off
	global_load_dword v2, v[2:3], off
	v_div_scale_f32 v3, null, v1, v1, 1.0
	v_div_scale_f32 v26, vcc_lo, 1.0, v1, 1.0
	v_rcp_f32_e32 v24, v3
	v_fma_f32 v25, -v3, v24, 1.0
	v_fmac_f32_e32 v24, v25, v24
	v_mul_f32_e32 v25, v26, v24
	v_fma_f32 v27, -v3, v25, v26
	v_fmac_f32_e32 v25, v27, v24
	v_fma_f32 v3, -v3, v25, v26
	v_div_fmas_f32 v3, v3, v24, v25
	v_div_fixup_f32 v1, v3, v1, 1.0
	s_waitcnt vmcnt(30)
	v_add_f32_e32 v9, v9, v10
	s_waitcnt vmcnt(26)
	v_add_f32_e32 v10, v11, v12
	v_sub_f32_e32 v6, v9, v6
	s_waitcnt vmcnt(25)
	v_sub_f32_e32 v8, v10, v8
	v_sub_f32_e32 v4, v6, v4
	s_waitcnt vmcnt(24)
	v_sub_f32_e32 v5, v8, v5
	v_max_f32_e32 v4, 0, v4
	v_max_f32_e32 v5, 0, v5
	s_waitcnt vmcnt(22)
	v_add_f32_e32 v11, v19, v20
	s_waitcnt vmcnt(18)
	v_add_f32_e32 v12, v21, v22
	v_sub_f32_e32 v9, v11, v17
	s_waitcnt vmcnt(17)
	v_sub_f32_e32 v10, v12, v18
	v_sub_f32_e32 v6, v9, v15
	s_waitcnt vmcnt(16)
	v_sub_f32_e32 v8, v10, v16
	v_max_f32_e32 v6, 0, v6
	v_max_f32_e32 v8, 0, v8
	v_add_f32_e32 v6, v6, v8
	v_sub_f32_e32 v4, v6, v4
	s_waitcnt vmcnt(14)
	v_add_f32_e32 v19, v42, v43
	s_waitcnt vmcnt(10)
	v_add_f32_e32 v20, v46, v47
	v_sub_f32_e32 v11, v19, v44
	s_waitcnt vmcnt(9)
	v_sub_f32_e32 v12, v20, v48
	v_sub_f32_e32 v9, v11, v45
	s_waitcnt vmcnt(8)
	v_sub_f32_e32 v10, v12, v35
	v_max_f32_e32 v8, 0, v9
	v_max_f32_e32 v9, 0, v10
	v_fmac_f32_e32 v8, 0xc0400000, v9
	v_mul_f32_e32 v3, v1, v8
	s_waitcnt vmcnt(6)
	v_add_f32_e32 v7, v7, v36
	s_waitcnt vmcnt(4)
	v_add_f32_e32 v17, v37, v29
	s_waitcnt vmcnt(3)
	v_sub_f32_e32 v7, v7, v13
	s_waitcnt vmcnt(2)
	v_sub_f32_e32 v11, v17, v14
	;; [unrolled: 2-line block ×4, first 2 shown]
	v_max_f32_e32 v7, 0, v7
	v_max_f32_e32 v2, 0, v2
	v_fmac_f32_e32 v7, 0xc0400000, v2
	v_sub_f32_e32 v2, v4, v5
	v_mul_f32_e32 v4, v1, v7
	v_mul_f32_e64 v2, v1, -v2
	v_ashrrev_i32_e32 v1, 31, v0
	v_mul_f32_e32 v3, v3, v4
	v_mul_f32_e32 v2, v2, v2
	v_lshlrev_b64 v[0:1], 2, v[0:1]
	v_fmamk_f32 v2, v2, 0xbf4f5c29, v3
	v_add_co_u32 v0, vcc_lo, s2, v0
	v_add_co_ci_u32_e64 v1, null, s3, v1, vcc_lo
	global_store_dword v[0:1], v2, off
.LBB0_2:
	s_endpgm
	.section	.rodata,"a",@progbits
	.p2align	6, 0x0
	.amdhsa_kernel _Z18hessian_matrix_detPKfiifPf
		.amdhsa_group_segment_fixed_size 0
		.amdhsa_private_segment_fixed_size 0
		.amdhsa_kernarg_size 288
		.amdhsa_user_sgpr_count 6
		.amdhsa_user_sgpr_private_segment_buffer 1
		.amdhsa_user_sgpr_dispatch_ptr 0
		.amdhsa_user_sgpr_queue_ptr 0
		.amdhsa_user_sgpr_kernarg_segment_ptr 1
		.amdhsa_user_sgpr_dispatch_id 0
		.amdhsa_user_sgpr_flat_scratch_init 0
		.amdhsa_user_sgpr_private_segment_size 0
		.amdhsa_wavefront_size32 1
		.amdhsa_uses_dynamic_stack 0
		.amdhsa_system_sgpr_private_segment_wavefront_offset 0
		.amdhsa_system_sgpr_workgroup_id_x 1
		.amdhsa_system_sgpr_workgroup_id_y 0
		.amdhsa_system_sgpr_workgroup_id_z 0
		.amdhsa_system_sgpr_workgroup_info 0
		.amdhsa_system_vgpr_workitem_id 0
		.amdhsa_next_free_vgpr 49
		.amdhsa_next_free_sgpr 11
		.amdhsa_reserve_vcc 1
		.amdhsa_reserve_flat_scratch 0
		.amdhsa_float_round_mode_32 0
		.amdhsa_float_round_mode_16_64 0
		.amdhsa_float_denorm_mode_32 3
		.amdhsa_float_denorm_mode_16_64 3
		.amdhsa_dx10_clamp 1
		.amdhsa_ieee_mode 1
		.amdhsa_fp16_overflow 0
		.amdhsa_workgroup_processor_mode 1
		.amdhsa_memory_ordered 1
		.amdhsa_forward_progress 1
		.amdhsa_shared_vgpr_count 0
		.amdhsa_exception_fp_ieee_invalid_op 0
		.amdhsa_exception_fp_denorm_src 0
		.amdhsa_exception_fp_ieee_div_zero 0
		.amdhsa_exception_fp_ieee_overflow 0
		.amdhsa_exception_fp_ieee_underflow 0
		.amdhsa_exception_fp_ieee_inexact 0
		.amdhsa_exception_int_div_zero 0
	.end_amdhsa_kernel
	.text
.Lfunc_end0:
	.size	_Z18hessian_matrix_detPKfiifPf, .Lfunc_end0-_Z18hessian_matrix_detPKfiifPf
                                        ; -- End function
	.set _Z18hessian_matrix_detPKfiifPf.num_vgpr, 49
	.set _Z18hessian_matrix_detPKfiifPf.num_agpr, 0
	.set _Z18hessian_matrix_detPKfiifPf.numbered_sgpr, 11
	.set _Z18hessian_matrix_detPKfiifPf.num_named_barrier, 0
	.set _Z18hessian_matrix_detPKfiifPf.private_seg_size, 0
	.set _Z18hessian_matrix_detPKfiifPf.uses_vcc, 1
	.set _Z18hessian_matrix_detPKfiifPf.uses_flat_scratch, 0
	.set _Z18hessian_matrix_detPKfiifPf.has_dyn_sized_stack, 0
	.set _Z18hessian_matrix_detPKfiifPf.has_recursion, 0
	.set _Z18hessian_matrix_detPKfiifPf.has_indirect_call, 0
	.section	.AMDGPU.csdata,"",@progbits
; Kernel info:
; codeLenInByte = 2380
; TotalNumSgprs: 13
; NumVgprs: 49
; ScratchSize: 0
; MemoryBound: 0
; FloatMode: 240
; IeeeMode: 1
; LDSByteSize: 0 bytes/workgroup (compile time only)
; SGPRBlocks: 0
; VGPRBlocks: 6
; NumSGPRsForWavesPerEU: 13
; NumVGPRsForWavesPerEU: 49
; Occupancy: 16
; WaveLimiterHint : 0
; COMPUTE_PGM_RSRC2:SCRATCH_EN: 0
; COMPUTE_PGM_RSRC2:USER_SGPR: 6
; COMPUTE_PGM_RSRC2:TRAP_HANDLER: 0
; COMPUTE_PGM_RSRC2:TGID_X_EN: 1
; COMPUTE_PGM_RSRC2:TGID_Y_EN: 0
; COMPUTE_PGM_RSRC2:TGID_Z_EN: 0
; COMPUTE_PGM_RSRC2:TIDIG_COMP_CNT: 0
	.text
	.p2alignl 6, 3214868480
	.fill 48, 4, 3214868480
	.section	.AMDGPU.gpr_maximums,"",@progbits
	.set amdgpu.max_num_vgpr, 0
	.set amdgpu.max_num_agpr, 0
	.set amdgpu.max_num_sgpr, 0
	.text
	.type	__hip_cuid_ca068f4dec49180c,@object ; @__hip_cuid_ca068f4dec49180c
	.section	.bss,"aw",@nobits
	.globl	__hip_cuid_ca068f4dec49180c
__hip_cuid_ca068f4dec49180c:
	.byte	0                               ; 0x0
	.size	__hip_cuid_ca068f4dec49180c, 1

	.ident	"AMD clang version 22.0.0git (https://github.com/RadeonOpenCompute/llvm-project roc-7.2.4 26084 f58b06dce1f9c15707c5f808fd002e18c2accf7e)"
	.section	".note.GNU-stack","",@progbits
	.addrsig
	.addrsig_sym __hip_cuid_ca068f4dec49180c
	.amdgpu_metadata
---
amdhsa.kernels:
  - .args:
      - .address_space:  global
        .offset:         0
        .size:           8
        .value_kind:     global_buffer
      - .offset:         8
        .size:           4
        .value_kind:     by_value
      - .offset:         12
        .size:           4
        .value_kind:     by_value
      - .offset:         16
        .size:           4
        .value_kind:     by_value
      - .address_space:  global
        .offset:         24
        .size:           8
        .value_kind:     global_buffer
      - .offset:         32
        .size:           4
        .value_kind:     hidden_block_count_x
      - .offset:         36
        .size:           4
        .value_kind:     hidden_block_count_y
      - .offset:         40
        .size:           4
        .value_kind:     hidden_block_count_z
      - .offset:         44
        .size:           2
        .value_kind:     hidden_group_size_x
      - .offset:         46
        .size:           2
        .value_kind:     hidden_group_size_y
      - .offset:         48
        .size:           2
        .value_kind:     hidden_group_size_z
      - .offset:         50
        .size:           2
        .value_kind:     hidden_remainder_x
      - .offset:         52
        .size:           2
        .value_kind:     hidden_remainder_y
      - .offset:         54
        .size:           2
        .value_kind:     hidden_remainder_z
      - .offset:         72
        .size:           8
        .value_kind:     hidden_global_offset_x
      - .offset:         80
        .size:           8
        .value_kind:     hidden_global_offset_y
      - .offset:         88
        .size:           8
        .value_kind:     hidden_global_offset_z
      - .offset:         96
        .size:           2
        .value_kind:     hidden_grid_dims
    .group_segment_fixed_size: 0
    .kernarg_segment_align: 8
    .kernarg_segment_size: 288
    .language:       OpenCL C
    .language_version:
      - 2
      - 0
    .max_flat_workgroup_size: 1024
    .name:           _Z18hessian_matrix_detPKfiifPf
    .private_segment_fixed_size: 0
    .sgpr_count:     13
    .sgpr_spill_count: 0
    .symbol:         _Z18hessian_matrix_detPKfiifPf.kd
    .uniform_work_group_size: 1
    .uses_dynamic_stack: false
    .vgpr_count:     49
    .vgpr_spill_count: 0
    .wavefront_size: 32
    .workgroup_processor_mode: 1
amdhsa.target:   amdgcn-amd-amdhsa--gfx1030
amdhsa.version:
  - 1
  - 2
...

	.end_amdgpu_metadata
